;; amdgpu-corpus repo=ROCm/rocFFT kind=compiled arch=gfx950 opt=O3
	.text
	.amdgcn_target "amdgcn-amd-amdhsa--gfx950"
	.amdhsa_code_object_version 6
	.protected	fft_rtc_fwd_len1620_factors_10_3_3_6_3_wgs_162_tpt_162_halfLds_dp_op_CI_CI_unitstride_sbrr_C2R_dirReg ; -- Begin function fft_rtc_fwd_len1620_factors_10_3_3_6_3_wgs_162_tpt_162_halfLds_dp_op_CI_CI_unitstride_sbrr_C2R_dirReg
	.globl	fft_rtc_fwd_len1620_factors_10_3_3_6_3_wgs_162_tpt_162_halfLds_dp_op_CI_CI_unitstride_sbrr_C2R_dirReg
	.p2align	8
	.type	fft_rtc_fwd_len1620_factors_10_3_3_6_3_wgs_162_tpt_162_halfLds_dp_op_CI_CI_unitstride_sbrr_C2R_dirReg,@function
fft_rtc_fwd_len1620_factors_10_3_3_6_3_wgs_162_tpt_162_halfLds_dp_op_CI_CI_unitstride_sbrr_C2R_dirReg: ; @fft_rtc_fwd_len1620_factors_10_3_3_6_3_wgs_162_tpt_162_halfLds_dp_op_CI_CI_unitstride_sbrr_C2R_dirReg
; %bb.0:
	s_load_dwordx4 s[4:7], s[0:1], 0x58
	s_load_dwordx4 s[8:11], s[0:1], 0x0
	;; [unrolled: 1-line block ×3, first 2 shown]
	v_mul_u32_u24_e32 v1, 0x195, v0
	v_add_u32_sdwa v6, s2, v1 dst_sel:DWORD dst_unused:UNUSED_PAD src0_sel:DWORD src1_sel:WORD_1
	v_mov_b32_e32 v4, 0
	s_waitcnt lgkmcnt(0)
	v_cmp_lt_u64_e64 s[2:3], s[10:11], 2
	v_mov_b32_e32 v7, v4
	s_and_b64 vcc, exec, s[2:3]
	v_mov_b64_e32 v[2:3], 0
	s_cbranch_vccnz .LBB0_8
; %bb.1:
	s_load_dwordx2 s[2:3], s[0:1], 0x10
	s_add_u32 s16, s14, 8
	s_addc_u32 s17, s15, 0
	s_add_u32 s18, s12, 8
	s_addc_u32 s19, s13, 0
	s_waitcnt lgkmcnt(0)
	s_add_u32 s20, s2, 8
	v_mov_b64_e32 v[2:3], 0
	s_addc_u32 s21, s3, 0
	s_mov_b64 s[22:23], 1
	v_mov_b64_e32 v[48:49], v[2:3]
.LBB0_2:                                ; =>This Inner Loop Header: Depth=1
	s_load_dwordx2 s[24:25], s[20:21], 0x0
                                        ; implicit-def: $vgpr50_vgpr51
	s_waitcnt lgkmcnt(0)
	v_or_b32_e32 v5, s25, v7
	v_cmp_ne_u64_e32 vcc, 0, v[4:5]
	s_and_saveexec_b64 s[2:3], vcc
	s_xor_b64 s[26:27], exec, s[2:3]
	s_cbranch_execz .LBB0_4
; %bb.3:                                ;   in Loop: Header=BB0_2 Depth=1
	v_cvt_f32_u32_e32 v1, s24
	v_cvt_f32_u32_e32 v5, s25
	s_sub_u32 s2, 0, s24
	s_subb_u32 s3, 0, s25
	v_fmac_f32_e32 v1, 0x4f800000, v5
	v_rcp_f32_e32 v1, v1
	s_nop 0
	v_mul_f32_e32 v1, 0x5f7ffffc, v1
	v_mul_f32_e32 v5, 0x2f800000, v1
	v_trunc_f32_e32 v5, v5
	v_fmac_f32_e32 v1, 0xcf800000, v5
	v_cvt_u32_f32_e32 v5, v5
	v_cvt_u32_f32_e32 v1, v1
	v_mul_lo_u32 v8, s2, v5
	v_mul_hi_u32 v10, s2, v1
	v_mul_lo_u32 v9, s3, v1
	v_add_u32_e32 v10, v10, v8
	v_mul_lo_u32 v12, s2, v1
	v_add_u32_e32 v13, v10, v9
	v_mul_hi_u32 v8, v1, v12
	v_mul_hi_u32 v11, v1, v13
	v_mul_lo_u32 v10, v1, v13
	v_mov_b32_e32 v9, v4
	v_lshl_add_u64 v[8:9], v[8:9], 0, v[10:11]
	v_mul_hi_u32 v11, v5, v12
	v_mul_lo_u32 v12, v5, v12
	v_add_co_u32_e32 v8, vcc, v8, v12
	v_mul_hi_u32 v10, v5, v13
	s_nop 0
	v_addc_co_u32_e32 v8, vcc, v9, v11, vcc
	v_mov_b32_e32 v9, v4
	s_nop 0
	v_addc_co_u32_e32 v11, vcc, 0, v10, vcc
	v_mul_lo_u32 v10, v5, v13
	v_lshl_add_u64 v[8:9], v[8:9], 0, v[10:11]
	v_add_co_u32_e32 v1, vcc, v1, v8
	v_mul_lo_u32 v10, s2, v1
	s_nop 0
	v_addc_co_u32_e32 v5, vcc, v5, v9, vcc
	v_mul_lo_u32 v8, s2, v5
	v_mul_hi_u32 v9, s2, v1
	v_add_u32_e32 v8, v9, v8
	v_mul_lo_u32 v9, s3, v1
	v_add_u32_e32 v12, v8, v9
	v_mul_hi_u32 v14, v5, v10
	v_mul_lo_u32 v15, v5, v10
	v_mul_hi_u32 v9, v1, v12
	v_mul_lo_u32 v8, v1, v12
	v_mul_hi_u32 v10, v1, v10
	v_mov_b32_e32 v11, v4
	v_lshl_add_u64 v[8:9], v[10:11], 0, v[8:9]
	v_add_co_u32_e32 v8, vcc, v8, v15
	v_mul_hi_u32 v13, v5, v12
	s_nop 0
	v_addc_co_u32_e32 v8, vcc, v9, v14, vcc
	v_mul_lo_u32 v10, v5, v12
	s_nop 0
	v_addc_co_u32_e32 v11, vcc, 0, v13, vcc
	v_mov_b32_e32 v9, v4
	v_lshl_add_u64 v[8:9], v[8:9], 0, v[10:11]
	v_add_co_u32_e32 v1, vcc, v1, v8
	v_mul_hi_u32 v10, v6, v1
	s_nop 0
	v_addc_co_u32_e32 v5, vcc, v5, v9, vcc
	v_mad_u64_u32 v[8:9], s[2:3], v6, v5, 0
	v_mov_b32_e32 v11, v4
	v_lshl_add_u64 v[8:9], v[10:11], 0, v[8:9]
	v_mad_u64_u32 v[12:13], s[2:3], v7, v1, 0
	v_add_co_u32_e32 v1, vcc, v8, v12
	v_mad_u64_u32 v[10:11], s[2:3], v7, v5, 0
	s_nop 0
	v_addc_co_u32_e32 v8, vcc, v9, v13, vcc
	v_mov_b32_e32 v9, v4
	s_nop 0
	v_addc_co_u32_e32 v11, vcc, 0, v11, vcc
	v_lshl_add_u64 v[8:9], v[8:9], 0, v[10:11]
	v_mul_lo_u32 v1, s25, v8
	v_mul_lo_u32 v5, s24, v9
	v_mad_u64_u32 v[10:11], s[2:3], s24, v8, 0
	v_add3_u32 v1, v11, v5, v1
	v_sub_u32_e32 v5, v7, v1
	v_mov_b32_e32 v11, s25
	v_sub_co_u32_e32 v14, vcc, v6, v10
	v_lshl_add_u64 v[12:13], v[8:9], 0, 1
	s_nop 0
	v_subb_co_u32_e64 v5, s[2:3], v5, v11, vcc
	v_subrev_co_u32_e64 v10, s[2:3], s24, v14
	v_subb_co_u32_e32 v1, vcc, v7, v1, vcc
	s_nop 0
	v_subbrev_co_u32_e64 v5, s[2:3], 0, v5, s[2:3]
	v_cmp_le_u32_e64 s[2:3], s25, v5
	v_cmp_le_u32_e32 vcc, s25, v1
	s_nop 0
	v_cndmask_b32_e64 v11, 0, -1, s[2:3]
	v_cmp_le_u32_e64 s[2:3], s24, v10
	s_nop 1
	v_cndmask_b32_e64 v10, 0, -1, s[2:3]
	v_cmp_eq_u32_e64 s[2:3], s25, v5
	s_nop 1
	v_cndmask_b32_e64 v5, v11, v10, s[2:3]
	v_lshl_add_u64 v[10:11], v[8:9], 0, 2
	v_cmp_ne_u32_e64 s[2:3], 0, v5
	s_nop 1
	v_cndmask_b32_e64 v5, v13, v11, s[2:3]
	v_cndmask_b32_e64 v11, 0, -1, vcc
	v_cmp_le_u32_e32 vcc, s24, v14
	s_nop 1
	v_cndmask_b32_e64 v13, 0, -1, vcc
	v_cmp_eq_u32_e32 vcc, s25, v1
	s_nop 1
	v_cndmask_b32_e32 v1, v11, v13, vcc
	v_cmp_ne_u32_e32 vcc, 0, v1
	v_cndmask_b32_e64 v1, v12, v10, s[2:3]
	s_nop 0
	v_cndmask_b32_e32 v51, v9, v5, vcc
	v_cndmask_b32_e32 v50, v8, v1, vcc
.LBB0_4:                                ;   in Loop: Header=BB0_2 Depth=1
	s_andn2_saveexec_b64 s[2:3], s[26:27]
	s_cbranch_execz .LBB0_6
; %bb.5:                                ;   in Loop: Header=BB0_2 Depth=1
	v_cvt_f32_u32_e32 v1, s24
	s_sub_i32 s26, 0, s24
	v_mov_b32_e32 v51, v4
	v_rcp_iflag_f32_e32 v1, v1
	s_nop 0
	v_mul_f32_e32 v1, 0x4f7ffffe, v1
	v_cvt_u32_f32_e32 v1, v1
	v_mul_lo_u32 v5, s26, v1
	v_mul_hi_u32 v5, v1, v5
	v_add_u32_e32 v1, v1, v5
	v_mul_hi_u32 v1, v6, v1
	v_mul_lo_u32 v5, v1, s24
	v_sub_u32_e32 v5, v6, v5
	v_add_u32_e32 v8, 1, v1
	v_subrev_u32_e32 v9, s24, v5
	v_cmp_le_u32_e32 vcc, s24, v5
	s_nop 1
	v_cndmask_b32_e32 v5, v5, v9, vcc
	v_cndmask_b32_e32 v1, v1, v8, vcc
	v_add_u32_e32 v8, 1, v1
	v_cmp_le_u32_e32 vcc, s24, v5
	s_nop 1
	v_cndmask_b32_e32 v50, v1, v8, vcc
.LBB0_6:                                ;   in Loop: Header=BB0_2 Depth=1
	s_or_b64 exec, exec, s[2:3]
	v_mad_u64_u32 v[8:9], s[2:3], v50, s24, 0
	s_load_dwordx2 s[2:3], s[18:19], 0x0
	v_mul_lo_u32 v1, v51, s24
	v_mul_lo_u32 v5, v50, s25
	s_load_dwordx2 s[24:25], s[16:17], 0x0
	s_add_u32 s22, s22, 1
	v_add3_u32 v1, v9, v5, v1
	v_sub_co_u32_e32 v5, vcc, v6, v8
	s_addc_u32 s23, s23, 0
	s_nop 0
	v_subb_co_u32_e32 v1, vcc, v7, v1, vcc
	s_add_u32 s16, s16, 8
	s_waitcnt lgkmcnt(0)
	v_mul_lo_u32 v6, s2, v1
	v_mul_lo_u32 v7, s3, v5
	v_mad_u64_u32 v[2:3], s[2:3], s2, v5, v[2:3]
	s_addc_u32 s17, s17, 0
	v_add3_u32 v3, v7, v3, v6
	v_mul_lo_u32 v1, s24, v1
	v_mul_lo_u32 v6, s25, v5
	v_mad_u64_u32 v[48:49], s[2:3], s24, v5, v[48:49]
	s_add_u32 s18, s18, 8
	v_add3_u32 v49, v6, v49, v1
	s_addc_u32 s19, s19, 0
	v_mov_b64_e32 v[6:7], s[10:11]
	s_add_u32 s20, s20, 8
	v_cmp_ge_u64_e32 vcc, s[22:23], v[6:7]
	s_addc_u32 s21, s21, 0
	s_cbranch_vccnz .LBB0_9
; %bb.7:                                ;   in Loop: Header=BB0_2 Depth=1
	v_mov_b64_e32 v[6:7], v[50:51]
	s_branch .LBB0_2
.LBB0_8:
	v_mov_b64_e32 v[48:49], v[2:3]
	v_mov_b64_e32 v[50:51], v[6:7]
.LBB0_9:
	s_load_dwordx2 s[2:3], s[0:1], 0x28
	s_lshl_b64 s[16:17], s[10:11], 3
	s_add_u32 s10, s14, s16
	s_addc_u32 s11, s15, s17
                                        ; implicit-def: $vgpr52
	s_waitcnt lgkmcnt(0)
	v_cmp_gt_u64_e64 s[0:1], s[2:3], v[50:51]
	v_cmp_le_u64_e32 vcc, s[2:3], v[50:51]
	s_and_saveexec_b64 s[2:3], vcc
	s_xor_b64 s[2:3], exec, s[2:3]
; %bb.10:
	s_mov_b32 s14, 0x1948b10
	v_mul_hi_u32 v1, v0, s14
	v_mul_u32_u24_e32 v1, 0xa2, v1
	v_sub_u32_e32 v52, v0, v1
                                        ; implicit-def: $vgpr0
                                        ; implicit-def: $vgpr2_vgpr3
; %bb.11:
	s_or_saveexec_b64 s[2:3], s[2:3]
	s_load_dwordx2 s[10:11], s[10:11], 0x0
	s_xor_b64 exec, exec, s[2:3]
	s_cbranch_execz .LBB0_15
; %bb.12:
	s_add_u32 s12, s12, s16
	s_addc_u32 s13, s13, s17
	s_load_dwordx2 s[12:13], s[12:13], 0x0
	s_mov_b32 s14, 0x1948b10
	s_waitcnt lgkmcnt(0)
	v_mul_lo_u32 v1, s13, v50
	v_mul_lo_u32 v6, s12, v51
	v_mad_u64_u32 v[4:5], s[12:13], s12, v50, 0
	v_add3_u32 v5, v5, v6, v1
	v_mul_hi_u32 v1, v0, s14
	v_mul_u32_u24_e32 v1, 0xa2, v1
	v_sub_u32_e32 v52, v0, v1
	v_lshl_add_u64 v[0:1], v[4:5], 4, s[4:5]
	v_lshl_add_u64 v[2:3], v[2:3], 4, v[0:1]
	v_lshlrev_b32_e32 v0, 4, v52
	v_mov_b32_e32 v1, 0
	v_lshl_add_u64 v[36:37], v[2:3], 0, v[0:1]
	s_movk_i32 s4, 0x1000
	v_add_co_u32_e32 v20, vcc, s4, v36
	s_movk_i32 s4, 0x2000
	s_nop 0
	v_addc_co_u32_e32 v21, vcc, 0, v37, vcc
	v_add_co_u32_e32 v28, vcc, s4, v36
	s_movk_i32 s4, 0x3000
	s_nop 0
	v_addc_co_u32_e32 v29, vcc, 0, v37, vcc
	;; [unrolled: 4-line block ×3, first 2 shown]
	v_add_co_u32_e32 v40, vcc, s4, v36
	global_load_dwordx4 v[4:7], v[36:37], off
	global_load_dwordx4 v[8:11], v[36:37], off offset:2592
	v_addc_co_u32_e32 v41, vcc, 0, v37, vcc
	v_add_co_u32_e32 v44, vcc, 0x5000, v36
	global_load_dwordx4 v[12:15], v[20:21], off offset:1088
	global_load_dwordx4 v[16:19], v[20:21], off offset:3680
	v_addc_co_u32_e32 v45, vcc, 0, v37, vcc
	global_load_dwordx4 v[20:23], v[28:29], off offset:2176
	global_load_dwordx4 v[24:27], v[38:39], off offset:672
	s_nop 0
	global_load_dwordx4 v[28:31], v[38:39], off offset:3264
	global_load_dwordx4 v[32:35], v[40:41], off offset:1760
	s_nop 0
	global_load_dwordx4 v[36:39], v[44:45], off offset:256
	global_load_dwordx4 v[40:43], v[44:45], off offset:2848
	s_movk_i32 s4, 0xa1
	v_add_u32_e32 v0, 0, v0
	v_cmp_eq_u32_e32 vcc, s4, v52
	s_waitcnt vmcnt(9)
	ds_write_b128 v0, v[4:7]
	s_waitcnt vmcnt(8)
	ds_write_b128 v0, v[8:11] offset:2592
	s_waitcnt vmcnt(7)
	ds_write_b128 v0, v[12:15] offset:5184
	;; [unrolled: 2-line block ×9, first 2 shown]
	s_and_saveexec_b64 s[4:5], vcc
	s_cbranch_execz .LBB0_14
; %bb.13:
	v_add_co_u32_e32 v2, vcc, 0x6000, v2
	v_mov_b32_e32 v52, 0xa1
	s_nop 0
	v_addc_co_u32_e32 v3, vcc, 0, v3, vcc
	global_load_dwordx4 v[2:5], v[2:3], off offset:1344
	s_waitcnt vmcnt(0)
	ds_write_b128 v1, v[2:5] offset:25920
.LBB0_14:
	s_or_b64 exec, exec, s[4:5]
.LBB0_15:
	s_or_b64 exec, exec, s[2:3]
	v_lshlrev_b32_e32 v0, 4, v52
	v_add_u32_e32 v56, 0, v0
	s_waitcnt lgkmcnt(0)
	s_barrier
	v_sub_u32_e32 v12, 0, v0
	ds_read_b64 v[6:7], v56
	ds_read_b64 v[8:9], v12 offset:25920
	s_add_u32 s2, s8, 0x64a0
	s_addc_u32 s3, s9, 0
	v_cmp_ne_u32_e32 vcc, 0, v52
                                        ; implicit-def: $vgpr4_vgpr5
	s_waitcnt lgkmcnt(0)
	v_add_f64 v[0:1], v[6:7], v[8:9]
	v_add_f64 v[2:3], v[6:7], -v[8:9]
	s_and_saveexec_b64 s[4:5], vcc
	s_xor_b64 s[4:5], exec, s[4:5]
	s_cbranch_execz .LBB0_17
; %bb.16:
	v_mov_b32_e32 v53, 0
	v_lshl_add_u64 v[0:1], v[52:53], 4, s[2:3]
	global_load_dwordx4 v[14:17], v[0:1], off
	ds_read_b64 v[0:1], v12 offset:25928
	ds_read_b64 v[2:3], v56 offset:8
	v_add_f64 v[4:5], v[6:7], v[8:9]
	v_add_f64 v[8:9], v[6:7], -v[8:9]
	s_waitcnt lgkmcnt(0)
	v_add_f64 v[10:11], v[0:1], v[2:3]
	v_add_f64 v[0:1], v[2:3], -v[0:1]
	s_waitcnt vmcnt(0)
	v_fma_f64 v[18:19], v[8:9], v[16:17], v[4:5]
	v_fma_f64 v[4:5], -v[8:9], v[16:17], v[4:5]
	v_fma_f64 v[6:7], v[10:11], v[16:17], -v[0:1]
	v_fma_f64 v[2:3], v[10:11], v[16:17], v[0:1]
	v_fmac_f64_e32 v[4:5], v[10:11], v[14:15]
	v_fmac_f64_e32 v[6:7], v[8:9], v[14:15]
	v_fma_f64 v[0:1], -v[10:11], v[14:15], v[18:19]
	v_fmac_f64_e32 v[2:3], v[8:9], v[14:15]
	ds_write_b128 v12, v[4:7] offset:25920
	v_mov_b64_e32 v[4:5], v[52:53]
.LBB0_17:
	s_andn2_saveexec_b64 s[4:5], s[4:5]
	s_cbranch_execz .LBB0_19
; %bb.18:
	v_mov_b32_e32 v8, 0
	ds_read_b128 v[4:7], v8 offset:12960
	s_waitcnt lgkmcnt(0)
	v_add_f64 v[4:5], v[4:5], v[4:5]
	v_mul_f64 v[6:7], v[6:7], -2.0
	ds_write_b128 v8, v[4:7] offset:12960
	v_mov_b64_e32 v[4:5], 0
.LBB0_19:
	s_or_b64 exec, exec, s[4:5]
	v_lshl_add_u64 v[18:19], v[4:5], 4, s[2:3]
	global_load_dwordx4 v[14:17], v[18:19], off offset:2592
	s_movk_i32 s2, 0x1000
	v_add_co_u32_e32 v20, vcc, s2, v18
	s_movk_i32 s2, 0x2000
	s_nop 0
	v_addc_co_u32_e32 v21, vcc, 0, v19, vcc
	global_load_dwordx4 v[4:7], v[20:21], off offset:1088
	global_load_dwordx4 v[8:11], v[20:21], off offset:3680
	v_add_co_u32_e32 v18, vcc, s2, v18
	ds_write_b128 v56, v[0:3]
	s_nop 0
	v_addc_co_u32_e32 v19, vcc, 0, v19, vcc
	global_load_dwordx4 v[18:21], v[18:19], off offset:2176
	ds_read_b128 v[0:3], v56 offset:2592
	ds_read_b128 v[22:25], v12 offset:23328
	s_mov_b32 s4, 0x134454ff
	s_mov_b32 s5, 0x3fee6f0e
	;; [unrolled: 1-line block ×4, first 2 shown]
	s_waitcnt lgkmcnt(0)
	v_add_f64 v[26:27], v[0:1], v[22:23]
	v_add_f64 v[28:29], v[24:25], v[2:3]
	v_add_f64 v[30:31], v[0:1], -v[22:23]
	v_add_f64 v[0:1], v[2:3], -v[24:25]
	s_mov_b32 s16, s4
	s_mov_b32 s3, 0x3fe2cf23
	;; [unrolled: 1-line block ×8, first 2 shown]
	v_cmp_gt_u32_e32 vcc, 54, v52
	s_waitcnt vmcnt(3)
	v_fma_f64 v[32:33], v[30:31], v[16:17], v[26:27]
	v_fma_f64 v[2:3], v[28:29], v[16:17], v[0:1]
	v_fma_f64 v[22:23], -v[30:31], v[16:17], v[26:27]
	v_fma_f64 v[24:25], v[28:29], v[16:17], -v[0:1]
	v_fma_f64 v[0:1], -v[28:29], v[14:15], v[32:33]
	v_fmac_f64_e32 v[2:3], v[30:31], v[14:15]
	v_fmac_f64_e32 v[22:23], v[28:29], v[14:15]
	v_fmac_f64_e32 v[24:25], v[30:31], v[14:15]
	ds_write_b128 v56, v[0:3] offset:2592
	ds_write_b128 v12, v[22:25] offset:23328
	ds_read_b128 v[0:3], v56 offset:5184
	ds_read_b128 v[14:17], v12 offset:20736
	s_waitcnt lgkmcnt(0)
	v_add_f64 v[22:23], v[0:1], v[14:15]
	v_add_f64 v[24:25], v[16:17], v[2:3]
	v_add_f64 v[26:27], v[0:1], -v[14:15]
	v_add_f64 v[0:1], v[2:3], -v[16:17]
	s_waitcnt vmcnt(2)
	v_fma_f64 v[28:29], v[26:27], v[6:7], v[22:23]
	v_fma_f64 v[2:3], v[24:25], v[6:7], v[0:1]
	v_fma_f64 v[14:15], -v[26:27], v[6:7], v[22:23]
	v_fma_f64 v[16:17], v[24:25], v[6:7], -v[0:1]
	v_fma_f64 v[0:1], -v[24:25], v[4:5], v[28:29]
	v_fmac_f64_e32 v[2:3], v[26:27], v[4:5]
	v_fmac_f64_e32 v[14:15], v[24:25], v[4:5]
	v_fmac_f64_e32 v[16:17], v[26:27], v[4:5]
	ds_write_b128 v56, v[0:3] offset:5184
	ds_write_b128 v12, v[14:17] offset:20736
	ds_read_b128 v[0:3], v56 offset:7776
	ds_read_b128 v[4:7], v12 offset:18144
	s_waitcnt lgkmcnt(0)
	v_add_f64 v[14:15], v[0:1], v[4:5]
	v_add_f64 v[16:17], v[6:7], v[2:3]
	v_add_f64 v[22:23], v[0:1], -v[4:5]
	v_add_f64 v[0:1], v[2:3], -v[6:7]
	;; [unrolled: 18-line block ×3, first 2 shown]
	s_waitcnt vmcnt(0)
	v_fma_f64 v[16:17], v[14:15], v[20:21], v[8:9]
	v_fma_f64 v[2:3], v[10:11], v[20:21], v[0:1]
	v_fma_f64 v[6:7], v[10:11], v[20:21], -v[0:1]
	v_fma_f64 v[4:5], -v[14:15], v[20:21], v[8:9]
	v_fma_f64 v[0:1], -v[10:11], v[18:19], v[16:17]
	v_fmac_f64_e32 v[2:3], v[14:15], v[18:19]
	v_fmac_f64_e32 v[6:7], v[14:15], v[18:19]
	;; [unrolled: 1-line block ×3, first 2 shown]
	ds_write_b128 v56, v[0:3] offset:10368
	ds_write_b128 v12, v[4:7] offset:15552
	s_waitcnt lgkmcnt(0)
	s_barrier
	s_barrier
	ds_read_b128 v[0:3], v56
	ds_read_b128 v[6:9], v56 offset:2592
	ds_read_b128 v[10:13], v56 offset:5184
	;; [unrolled: 1-line block ×9, first 2 shown]
	s_waitcnt lgkmcnt(5)
	v_add_f64 v[54:55], v[10:11], -v[18:19]
	s_waitcnt lgkmcnt(3)
	v_add_f64 v[4:5], v[18:19], v[26:27]
	s_waitcnt lgkmcnt(2)
	v_add_f64 v[44:45], v[12:13], -v[32:33]
	v_add_f64 v[58:59], v[30:31], -v[26:27]
	v_fma_f64 v[4:5], -0.5, v[4:5], v[0:1]
	v_add_f64 v[46:47], v[20:21], -v[28:29]
	v_add_f64 v[54:55], v[54:55], v[58:59]
	v_fma_f64 v[58:59], s[4:5], v[44:45], v[4:5]
	v_fmac_f64_e32 v[4:5], s[16:17], v[44:45]
	v_fmac_f64_e32 v[58:59], s[2:3], v[46:47]
	;; [unrolled: 1-line block ×5, first 2 shown]
	v_add_f64 v[54:55], v[10:11], v[30:31]
	v_add_f64 v[42:43], v[0:1], v[10:11]
	v_fmac_f64_e32 v[0:1], -0.5, v[54:55]
	v_add_f64 v[60:61], v[18:19], -v[10:11]
	v_add_f64 v[62:63], v[26:27], -v[30:31]
	v_fma_f64 v[54:55], s[16:17], v[46:47], v[0:1]
	v_add_f64 v[60:61], v[60:61], v[62:63]
	v_fmac_f64_e32 v[0:1], s[4:5], v[46:47]
	v_add_f64 v[62:63], v[18:19], -v[26:27]
	v_add_f64 v[18:19], v[42:43], v[18:19]
	v_add_f64 v[42:43], v[2:3], v[12:13]
	v_fmac_f64_e32 v[54:55], s[2:3], v[44:45]
	v_fmac_f64_e32 v[0:1], s[14:15], v[44:45]
	v_add_f64 v[44:45], v[20:21], v[28:29]
	v_add_f64 v[46:47], v[12:13], -v[20:21]
	v_add_f64 v[42:43], v[42:43], v[20:21]
	v_add_f64 v[20:21], v[20:21], -v[12:13]
	v_add_f64 v[12:13], v[12:13], v[32:33]
	v_fma_f64 v[44:45], -0.5, v[44:45], v[2:3]
	v_fmac_f64_e32 v[2:3], -0.5, v[12:13]
	v_add_f64 v[10:11], v[10:11], -v[30:31]
	v_add_f64 v[18:19], v[18:19], v[26:27]
	v_add_f64 v[26:27], v[42:43], v[28:29]
	v_fma_f64 v[42:43], s[4:5], v[62:63], v[2:3]
	v_add_f64 v[12:13], v[28:29], -v[32:33]
	v_fmac_f64_e32 v[2:3], s[16:17], v[62:63]
	v_fmac_f64_e32 v[54:55], s[12:13], v[60:61]
	;; [unrolled: 1-line block ×3, first 2 shown]
	v_add_f64 v[60:61], v[32:33], -v[28:29]
	v_fmac_f64_e32 v[42:43], s[14:15], v[10:11]
	v_add_f64 v[12:13], v[20:21], v[12:13]
	v_fmac_f64_e32 v[2:3], s[2:3], v[10:11]
	v_add_f64 v[46:47], v[46:47], v[60:61]
	v_fma_f64 v[60:61], s[16:17], v[10:11], v[44:45]
	v_fmac_f64_e32 v[44:45], s[4:5], v[10:11]
	v_fmac_f64_e32 v[42:43], s[12:13], v[12:13]
	v_fmac_f64_e32 v[2:3], s[12:13], v[12:13]
	s_waitcnt lgkmcnt(1)
	v_add_f64 v[12:13], v[22:23], v[34:35]
	v_fmac_f64_e32 v[60:61], s[14:15], v[62:63]
	v_fmac_f64_e32 v[44:45], s[2:3], v[62:63]
	v_fma_f64 v[28:29], -0.5, v[12:13], v[6:7]
	s_waitcnt lgkmcnt(0)
	v_add_f64 v[12:13], v[16:17], -v[40:41]
	v_fmac_f64_e32 v[60:61], s[12:13], v[46:47]
	v_fmac_f64_e32 v[44:45], s[12:13], v[46:47]
	v_add_f64 v[18:19], v[18:19], v[30:31]
	v_add_f64 v[26:27], v[26:27], v[32:33]
	v_fma_f64 v[30:31], s[4:5], v[12:13], v[28:29]
	v_add_f64 v[20:21], v[24:25], -v[36:37]
	v_add_f64 v[32:33], v[14:15], -v[22:23]
	;; [unrolled: 1-line block ×3, first 2 shown]
	v_fmac_f64_e32 v[28:29], s[16:17], v[12:13]
	v_fmac_f64_e32 v[30:31], s[2:3], v[20:21]
	v_add_f64 v[32:33], v[32:33], v[46:47]
	v_fmac_f64_e32 v[28:29], s[14:15], v[20:21]
	v_fmac_f64_e32 v[30:31], s[12:13], v[32:33]
	v_fmac_f64_e32 v[28:29], s[12:13], v[32:33]
	v_add_f64 v[32:33], v[14:15], v[38:39]
	v_add_f64 v[10:11], v[6:7], v[14:15]
	v_fmac_f64_e32 v[6:7], -0.5, v[32:33]
	v_fma_f64 v[32:33], s[16:17], v[20:21], v[6:7]
	v_add_f64 v[46:47], v[22:23], -v[14:15]
	v_add_f64 v[62:63], v[34:35], -v[38:39]
	v_fmac_f64_e32 v[6:7], s[4:5], v[20:21]
	v_fmac_f64_e32 v[32:33], s[2:3], v[12:13]
	v_add_f64 v[46:47], v[46:47], v[62:63]
	v_fmac_f64_e32 v[6:7], s[14:15], v[12:13]
	v_add_f64 v[12:13], v[24:25], v[36:37]
	v_fmac_f64_e32 v[32:33], s[12:13], v[46:47]
	v_fmac_f64_e32 v[6:7], s[12:13], v[46:47]
	v_fma_f64 v[46:47], -0.5, v[12:13], v[8:9]
	v_add_f64 v[12:13], v[14:15], -v[38:39]
	v_add_f64 v[14:15], v[16:17], -v[24:25]
	;; [unrolled: 1-line block ×3, first 2 shown]
	v_add_f64 v[14:15], v[14:15], v[20:21]
	v_fma_f64 v[62:63], s[16:17], v[12:13], v[46:47]
	v_add_f64 v[20:21], v[22:23], -v[34:35]
	v_fmac_f64_e32 v[46:47], s[4:5], v[12:13]
	v_fmac_f64_e32 v[62:63], s[14:15], v[20:21]
	v_fmac_f64_e32 v[46:47], s[2:3], v[20:21]
	v_fmac_f64_e32 v[62:63], s[12:13], v[14:15]
	v_fmac_f64_e32 v[46:47], s[12:13], v[14:15]
	v_add_f64 v[14:15], v[8:9], v[16:17]
	v_add_f64 v[14:15], v[14:15], v[24:25]
	;; [unrolled: 1-line block ×7, first 2 shown]
	v_fmac_f64_e32 v[8:9], -0.5, v[14:15]
	v_add_f64 v[22:23], v[24:25], -v[16:17]
	v_fma_f64 v[14:15], s[4:5], v[20:21], v[8:9]
	v_add_f64 v[16:17], v[36:37], -v[40:41]
	v_fmac_f64_e32 v[8:9], s[16:17], v[20:21]
	v_add_f64 v[16:17], v[22:23], v[16:17]
	v_fmac_f64_e32 v[8:9], s[2:3], v[12:13]
	v_fmac_f64_e32 v[14:15], s[14:15], v[12:13]
	;; [unrolled: 1-line block ×3, first 2 shown]
	v_mul_f64 v[20:21], v[6:7], s[12:13]
	v_fmac_f64_e32 v[14:15], s[12:13], v[16:17]
	v_fma_f64 v[64:65], v[8:9], s[4:5], -v[20:21]
	v_mul_f64 v[8:9], v[8:9], s[12:13]
	v_add_f64 v[10:11], v[10:11], v[38:39]
	v_mul_f64 v[36:37], v[30:31], s[18:19]
	v_mul_f64 v[38:39], v[14:15], s[4:5]
	v_fma_f64 v[6:7], v[6:7], s[16:17], -v[8:9]
	v_mul_f64 v[8:9], v[30:31], s[14:15]
	v_mul_f64 v[22:23], v[28:29], s[18:19]
	;; [unrolled: 1-line block ×3, first 2 shown]
	v_fmac_f64_e32 v[36:37], s[2:3], v[62:63]
	v_fmac_f64_e32 v[38:39], s[12:13], v[32:33]
	;; [unrolled: 1-line block ×3, first 2 shown]
	v_fma_f64 v[62:63], v[46:47], s[2:3], -v[22:23]
	v_fmac_f64_e32 v[66:67], s[12:13], v[14:15]
	v_mul_f64 v[14:15], v[46:47], s[18:19]
	s_movk_i32 s2, 0x90
	v_add_f64 v[12:13], v[18:19], v[10:11]
	v_add_f64 v[16:17], v[58:59], v[36:37]
	;; [unrolled: 1-line block ×3, first 2 shown]
	v_fma_f64 v[46:47], v[28:29], s[14:15], -v[14:15]
	v_add_f64 v[24:25], v[0:1], v[64:65]
	v_add_f64 v[14:15], v[26:27], v[34:35]
	v_add_f64 v[28:29], v[18:19], -v[10:11]
	v_add_f64 v[30:31], v[26:27], -v[34:35]
	v_add_f64 v[32:33], v[4:5], v[62:63]
	v_add_f64 v[18:19], v[60:61], v[8:9]
	;; [unrolled: 1-line block ×4, first 2 shown]
	v_add_f64 v[40:41], v[54:55], -v[38:39]
	v_add_f64 v[38:39], v[60:61], -v[8:9]
	;; [unrolled: 1-line block ×6, first 2 shown]
	v_mad_u32_u24 v4, v52, s2, v56
	v_add_f64 v[34:35], v[44:45], v[46:47]
	v_add_f64 v[36:37], v[58:59], -v[36:37]
	v_add_f64 v[10:11], v[44:45], -v[46:47]
	s_barrier
	ds_write_b128 v4, v[12:15]
	ds_write_b128 v4, v[16:19] offset:16
	ds_write_b128 v4, v[20:23] offset:32
	;; [unrolled: 1-line block ×9, first 2 shown]
	s_waitcnt lgkmcnt(0)
	s_barrier
	ds_read_b128 v[16:19], v56
	ds_read_b128 v[12:15], v56 offset:2592
	ds_read_b128 v[40:43], v56 offset:17280
	;; [unrolled: 1-line block ×8, first 2 shown]
                                        ; implicit-def: $vgpr38_vgpr39
                                        ; implicit-def: $vgpr34_vgpr35
	s_and_saveexec_b64 s[2:3], vcc
	s_cbranch_execz .LBB0_21
; %bb.20:
	ds_read_b128 v[8:11], v56 offset:7776
	ds_read_b128 v[32:35], v56 offset:16416
	;; [unrolled: 1-line block ×3, first 2 shown]
.LBB0_21:
	s_or_b64 exec, exec, s[2:3]
	s_movk_i32 s2, 0xcd
	v_mul_lo_u16_sdwa v53, v52, s2 dst_sel:DWORD dst_unused:UNUSED_PAD src0_sel:BYTE_0 src1_sel:DWORD
	v_lshrrev_b16_e32 v59, 11, v53
	v_mul_lo_u16_e32 v53, 10, v59
	v_sub_u16_e32 v88, v52, v53
	v_mov_b32_e32 v53, 5
	v_lshlrev_b32_sdwa v53, v53, v88 dst_sel:DWORD dst_unused:UNUSED_PAD src0_sel:DWORD src1_sel:BYTE_0
	global_load_dwordx4 v[60:63], v53, s[8:9]
	global_load_dwordx4 v[64:67], v53, s[8:9] offset:16
	v_add_u32_e32 v58, 0xa2, v52
	s_mov_b32 s2, 0xcccd
	v_add_u32_e32 v57, 0x144, v52
	v_add_u32_e32 v53, 0x1e6, v52
	v_mul_u32_u24_sdwa v54, v58, s2 dst_sel:DWORD dst_unused:UNUSED_PAD src0_sel:WORD_0 src1_sel:DWORD
	v_mul_u32_u24_sdwa v55, v57, s2 dst_sel:DWORD dst_unused:UNUSED_PAD src0_sel:WORD_0 src1_sel:DWORD
	;; [unrolled: 1-line block ×3, first 2 shown]
	v_lshrrev_b32_e32 v89, 19, v54
	v_lshrrev_b32_e32 v90, 19, v55
	;; [unrolled: 1-line block ×3, first 2 shown]
	v_mul_lo_u16_e32 v55, 10, v89
	v_mul_lo_u16_e32 v68, 10, v90
	;; [unrolled: 1-line block ×3, first 2 shown]
	v_sub_u16_e32 v91, v58, v55
	v_sub_u16_e32 v92, v57, v68
	;; [unrolled: 1-line block ×3, first 2 shown]
	v_lshlrev_b32_e32 v84, 5, v91
	v_lshlrev_b32_e32 v85, 5, v92
	global_load_dwordx4 v[68:71], v84, s[8:9]
	v_lshlrev_b32_e32 v93, 5, v55
	global_load_dwordx4 v[72:75], v84, s[8:9] offset:16
	global_load_dwordx4 v[76:79], v85, s[8:9]
	global_load_dwordx4 v[80:83], v85, s[8:9] offset:16
	s_mov_b32 s2, 0xe8584caa
	s_mov_b32 s3, 0x3febb67a
	;; [unrolled: 1-line block ×4, first 2 shown]
	v_mul_u32_u24_e32 v59, 0x1e0, v59
	s_waitcnt vmcnt(5) lgkmcnt(4)
	v_mul_f64 v[84:85], v[46:47], v[62:63]
	v_mul_f64 v[62:63], v[44:45], v[62:63]
	v_fma_f64 v[84:85], v[44:45], v[60:61], -v[84:85]
	v_fmac_f64_e32 v[62:63], v[46:47], v[60:61]
	global_load_dwordx4 v[44:47], v93, s[8:9]
	s_waitcnt vmcnt(5)
	v_mul_f64 v[86:87], v[42:43], v[66:67]
	v_mul_f64 v[60:61], v[40:41], v[66:67]
	v_fma_f64 v[66:67], v[40:41], v[64:65], -v[86:87]
	v_fmac_f64_e32 v[60:61], v[42:43], v[64:65]
	global_load_dwordx4 v[40:43], v93, s[8:9] offset:16
	s_waitcnt lgkmcnt(0)
	s_barrier
	s_waitcnt vmcnt(5)
	v_mul_f64 v[64:65], v[30:31], v[70:71]
	v_mul_f64 v[70:71], v[28:29], v[70:71]
	s_waitcnt vmcnt(4)
	v_mul_f64 v[86:87], v[26:27], v[74:75]
	v_fma_f64 v[64:65], v[28:29], v[68:69], -v[64:65]
	v_fmac_f64_e32 v[70:71], v[30:31], v[68:69]
	v_mul_f64 v[68:69], v[24:25], v[74:75]
	s_waitcnt vmcnt(3)
	v_mul_f64 v[28:29], v[22:23], v[78:79]
	v_mul_f64 v[74:75], v[20:21], v[78:79]
	v_fma_f64 v[78:79], v[24:25], v[72:73], -v[86:87]
	s_waitcnt vmcnt(2)
	v_mul_f64 v[30:31], v[2:3], v[82:83]
	v_fmac_f64_e32 v[68:69], v[26:27], v[72:73]
	v_mul_f64 v[72:73], v[0:1], v[82:83]
	v_fma_f64 v[20:21], v[20:21], v[76:77], -v[28:29]
	v_fmac_f64_e32 v[74:75], v[22:23], v[76:77]
	v_fma_f64 v[0:1], v[0:1], v[80:81], -v[30:31]
	v_fmac_f64_e32 v[72:73], v[2:3], v[80:81]
	v_add_f64 v[2:3], v[62:63], -v[60:61]
	v_add_f64 v[30:31], v[16:17], v[84:85]
	v_add_f64 v[28:29], v[62:63], v[60:61]
	s_waitcnt vmcnt(1)
	v_mul_f64 v[24:25], v[34:35], v[46:47]
	v_mul_f64 v[82:83], v[32:33], v[46:47]
	v_fma_f64 v[76:77], v[32:33], v[44:45], -v[24:25]
	v_add_f64 v[32:33], v[84:85], v[66:67]
	v_fmac_f64_e32 v[16:17], -0.5, v[32:33]
	s_waitcnt vmcnt(0)
	v_mul_f64 v[26:27], v[38:39], v[42:43]
	v_add_f64 v[24:25], v[18:19], v[62:63]
	v_fma_f64 v[32:33], s[2:3], v[2:3], v[16:17]
	v_fmac_f64_e32 v[16:17], s[4:5], v[2:3]
	v_add_f64 v[2:3], v[14:15], v[70:71]
	v_mul_f64 v[22:23], v[36:37], v[42:43]
	v_fma_f64 v[80:81], v[36:37], v[40:41], -v[26:27]
	v_add_f64 v[26:27], v[24:25], v[60:61]
	v_add_f64 v[24:25], v[30:31], v[66:67]
	;; [unrolled: 1-line block ×4, first 2 shown]
	v_fmac_f64_e32 v[22:23], v[38:39], v[40:41]
	v_add_f64 v[38:39], v[64:65], v[78:79]
	v_fmac_f64_e32 v[14:15], -0.5, v[2:3]
	v_add_f64 v[2:3], v[64:65], -v[78:79]
	v_fmac_f64_e32 v[82:83], v[34:35], v[44:45]
	v_add_f64 v[34:35], v[12:13], v[64:65]
	v_fmac_f64_e32 v[12:13], -0.5, v[38:39]
	v_fma_f64 v[38:39], s[4:5], v[2:3], v[14:15]
	v_fmac_f64_e32 v[14:15], s[2:3], v[2:3]
	v_add_f64 v[2:3], v[4:5], v[20:21]
	v_add_f64 v[36:37], v[84:85], -v[66:67]
	v_add_f64 v[40:41], v[70:71], -v[68:69]
	v_fmac_f64_e32 v[18:19], -0.5, v[28:29]
	v_add_f64 v[44:45], v[2:3], v[0:1]
	v_add_f64 v[2:3], v[6:7], v[74:75]
	v_add_f64 v[28:29], v[34:35], v[78:79]
	v_fma_f64 v[34:35], s[4:5], v[36:37], v[18:19]
	v_fmac_f64_e32 v[18:19], s[2:3], v[36:37]
	v_fma_f64 v[36:37], s[2:3], v[40:41], v[12:13]
	v_fmac_f64_e32 v[12:13], s[4:5], v[40:41]
	v_add_f64 v[40:41], v[20:21], v[0:1]
	v_add_f64 v[46:47], v[2:3], v[72:73]
	;; [unrolled: 1-line block ×3, first 2 shown]
	v_fmac_f64_e32 v[4:5], -0.5, v[40:41]
	v_add_f64 v[42:43], v[74:75], -v[72:73]
	v_fmac_f64_e32 v[6:7], -0.5, v[2:3]
	v_add_f64 v[0:1], v[20:21], -v[0:1]
	v_add_f64 v[2:3], v[76:77], v[80:81]
	v_fma_f64 v[40:41], s[2:3], v[42:43], v[4:5]
	v_fmac_f64_e32 v[4:5], s[4:5], v[42:43]
	v_fma_f64 v[42:43], s[4:5], v[0:1], v[6:7]
	v_fmac_f64_e32 v[6:7], s[2:3], v[0:1]
	v_add_f64 v[0:1], v[8:9], v[76:77]
	v_fmac_f64_e32 v[8:9], -0.5, v[2:3]
	v_add_f64 v[2:3], v[82:83], -v[22:23]
	v_fma_f64 v[20:21], s[2:3], v[2:3], v[8:9]
	v_fmac_f64_e32 v[8:9], s[4:5], v[2:3]
	v_add_f64 v[2:3], v[10:11], v[82:83]
	v_add_f64 v[2:3], v[2:3], v[22:23]
	;; [unrolled: 1-line block ×3, first 2 shown]
	v_fmac_f64_e32 v[10:11], -0.5, v[22:23]
	v_add_f64 v[60:61], v[76:77], -v[80:81]
	v_fma_f64 v[22:23], s[4:5], v[60:61], v[10:11]
	v_fmac_f64_e32 v[10:11], s[2:3], v[60:61]
	v_mov_b32_e32 v60, 4
	v_lshlrev_b32_sdwa v60, v60, v88 dst_sel:DWORD dst_unused:UNUSED_PAD src0_sel:DWORD src1_sel:BYTE_0
	v_add3_u32 v59, 0, v59, v60
	ds_write_b128 v59, v[24:27]
	ds_write_b128 v59, v[32:35] offset:160
	ds_write_b128 v59, v[16:19] offset:320
	v_mul_u32_u24_e32 v16, 0x1e0, v89
	v_lshlrev_b32_e32 v17, 4, v91
	v_add3_u32 v16, 0, v16, v17
	ds_write_b128 v16, v[28:31]
	ds_write_b128 v16, v[36:39] offset:160
	ds_write_b128 v16, v[12:15] offset:320
	v_mul_u32_u24_e32 v12, 0x1e0, v90
	v_lshlrev_b32_e32 v13, 4, v92
	v_add_f64 v[0:1], v[0:1], v[80:81]
	v_add3_u32 v12, 0, v12, v13
	ds_write_b128 v12, v[44:47]
	ds_write_b128 v12, v[40:43] offset:160
	ds_write_b128 v12, v[4:7] offset:320
	s_and_saveexec_b64 s[2:3], vcc
	s_cbranch_execz .LBB0_23
; %bb.22:
	v_mul_lo_u16_e32 v4, 30, v54
	v_lshlrev_b32_e32 v5, 4, v55
	v_lshlrev_b32_e32 v4, 4, v4
	v_add3_u32 v4, 0, v5, v4
	ds_write_b128 v4, v[0:3]
	ds_write_b128 v4, v[20:23] offset:160
	ds_write_b128 v4, v[8:11] offset:320
.LBB0_23:
	s_or_b64 exec, exec, s[2:3]
	s_waitcnt lgkmcnt(0)
	s_barrier
	ds_read_b128 v[28:31], v56
	ds_read_b128 v[24:27], v56 offset:2592
	ds_read_b128 v[40:43], v56 offset:17280
	;; [unrolled: 1-line block ×8, first 2 shown]
	s_and_saveexec_b64 s[2:3], vcc
	s_cbranch_execz .LBB0_25
; %bb.24:
	ds_read_b128 v[0:3], v56 offset:7776
	ds_read_b128 v[20:23], v56 offset:16416
	;; [unrolled: 1-line block ×3, first 2 shown]
.LBB0_25:
	s_or_b64 exec, exec, s[2:3]
	s_movk_i32 s2, 0x89
	v_mul_lo_u16_sdwa v54, v52, s2 dst_sel:DWORD dst_unused:UNUSED_PAD src0_sel:BYTE_0 src1_sel:DWORD
	v_lshrrev_b16_e32 v59, 12, v54
	v_mul_lo_u16_e32 v54, 30, v59
	v_sub_u16_e32 v88, v52, v54
	v_mov_b32_e32 v54, 5
	v_lshlrev_b32_sdwa v54, v54, v88 dst_sel:DWORD dst_unused:UNUSED_PAD src0_sel:DWORD src1_sel:BYTE_0
	global_load_dwordx4 v[60:63], v54, s[8:9] offset:320
	global_load_dwordx4 v[64:67], v54, s[8:9] offset:336
	s_mov_b32 s2, 0x8889
	v_mul_u32_u24_sdwa v54, v58, s2 dst_sel:DWORD dst_unused:UNUSED_PAD src0_sel:WORD_0 src1_sel:DWORD
	v_mul_u32_u24_sdwa v55, v57, s2 dst_sel:DWORD dst_unused:UNUSED_PAD src0_sel:WORD_0 src1_sel:DWORD
	;; [unrolled: 1-line block ×3, first 2 shown]
	v_lshrrev_b32_e32 v89, 20, v54
	v_lshrrev_b32_e32 v90, 20, v55
	;; [unrolled: 1-line block ×3, first 2 shown]
	v_mul_lo_u16_e32 v55, 30, v89
	v_mul_lo_u16_e32 v68, 30, v90
	v_sub_u16_e32 v91, v58, v55
	v_sub_u16_e32 v92, v57, v68
	v_mul_lo_u16_e32 v69, 30, v54
	v_lshlrev_b32_e32 v84, 5, v91
	v_lshlrev_b32_e32 v85, 5, v92
	v_sub_u16_e32 v55, v53, v69
	global_load_dwordx4 v[68:71], v84, s[8:9] offset:320
	global_load_dwordx4 v[72:75], v84, s[8:9] offset:336
	;; [unrolled: 1-line block ×4, first 2 shown]
	v_lshlrev_b32_e32 v93, 5, v55
	s_mov_b32 s2, 0xe8584caa
	s_mov_b32 s3, 0x3febb67a
	;; [unrolled: 1-line block ×3, first 2 shown]
	v_mul_u32_u24_e32 v59, 0x5a0, v59
	s_waitcnt vmcnt(5) lgkmcnt(4)
	v_mul_f64 v[84:85], v[46:47], v[62:63]
	v_mul_f64 v[62:63], v[44:45], v[62:63]
	s_waitcnt vmcnt(4)
	v_mul_f64 v[86:87], v[42:43], v[66:67]
	v_fma_f64 v[84:85], v[44:45], v[60:61], -v[84:85]
	v_fmac_f64_e32 v[62:63], v[46:47], v[60:61]
	v_mul_f64 v[60:61], v[40:41], v[66:67]
	v_fma_f64 v[66:67], v[40:41], v[64:65], -v[86:87]
	global_load_dwordx4 v[44:47], v93, s[8:9] offset:320
	v_fmac_f64_e32 v[60:61], v[42:43], v[64:65]
	global_load_dwordx4 v[40:43], v93, s[8:9] offset:336
	s_waitcnt lgkmcnt(0)
	s_barrier
	s_waitcnt vmcnt(4)
	v_mul_f64 v[86:87], v[34:35], v[74:75]
	v_mul_f64 v[64:65], v[38:39], v[70:71]
	;; [unrolled: 1-line block ×3, first 2 shown]
	v_fma_f64 v[64:65], v[36:37], v[68:69], -v[64:65]
	v_fmac_f64_e32 v[70:71], v[38:39], v[68:69]
	v_mul_f64 v[38:39], v[32:33], v[74:75]
	s_waitcnt vmcnt(3)
	v_mul_f64 v[36:37], v[18:19], v[78:79]
	v_mul_f64 v[68:69], v[16:17], v[78:79]
	s_waitcnt vmcnt(2)
	v_mul_f64 v[74:75], v[14:15], v[82:83]
	v_fma_f64 v[78:79], v[32:33], v[72:73], -v[86:87]
	v_fmac_f64_e32 v[38:39], v[34:35], v[72:73]
	v_mul_f64 v[72:73], v[12:13], v[82:83]
	v_fma_f64 v[16:17], v[16:17], v[76:77], -v[36:37]
	v_fmac_f64_e32 v[68:69], v[18:19], v[76:77]
	v_fma_f64 v[18:19], v[12:13], v[80:81], -v[74:75]
	v_fmac_f64_e32 v[72:73], v[14:15], v[80:81]
	v_add_f64 v[12:13], v[62:63], -v[60:61]
	v_add_f64 v[14:15], v[30:31], v[62:63]
	v_add_f64 v[36:37], v[24:25], v[64:65]
	;; [unrolled: 1-line block ×3, first 2 shown]
	s_waitcnt vmcnt(1)
	v_mul_f64 v[32:33], v[22:23], v[46:47]
	v_mul_f64 v[82:83], v[20:21], v[46:47]
	s_waitcnt vmcnt(0)
	v_mul_f64 v[34:35], v[10:11], v[42:43]
	v_mul_f64 v[76:77], v[8:9], v[42:43]
	v_fma_f64 v[74:75], v[20:21], v[44:45], -v[32:33]
	v_fmac_f64_e32 v[82:83], v[22:23], v[44:45]
	v_fma_f64 v[22:23], v[8:9], v[40:41], -v[34:35]
	v_fmac_f64_e32 v[76:77], v[10:11], v[40:41]
	v_add_f64 v[8:9], v[28:29], v[84:85]
	v_add_f64 v[10:11], v[84:85], v[66:67]
	;; [unrolled: 1-line block ×5, first 2 shown]
	v_add_f64 v[44:45], v[84:85], -v[66:67]
	v_add_f64 v[46:47], v[70:71], -v[38:39]
	v_add_f64 v[42:43], v[26:27], v[70:71]
	v_fmac_f64_e32 v[28:29], -0.5, v[10:11]
	v_add_f64 v[32:33], v[8:9], v[66:67]
	v_fmac_f64_e32 v[30:31], -0.5, v[20:21]
	v_fmac_f64_e32 v[24:25], -0.5, v[40:41]
	;; [unrolled: 1-line block ×3, first 2 shown]
	v_add_f64 v[8:9], v[64:65], -v[78:79]
	v_add_f64 v[10:11], v[16:17], v[18:19]
	v_add_f64 v[34:35], v[14:15], v[60:61]
	;; [unrolled: 1-line block ×3, first 2 shown]
	v_fma_f64 v[42:43], s[4:5], v[44:45], v[30:31]
	v_fmac_f64_e32 v[30:31], s[2:3], v[44:45]
	v_fma_f64 v[44:45], s[2:3], v[46:47], v[24:25]
	v_fmac_f64_e32 v[24:25], s[4:5], v[46:47]
	;; [unrolled: 2-line block ×3, first 2 shown]
	v_add_f64 v[8:9], v[4:5], v[16:17]
	v_fmac_f64_e32 v[4:5], -0.5, v[10:11]
	v_add_f64 v[10:11], v[68:69], -v[72:73]
	v_add_f64 v[14:15], v[68:69], v[72:73]
	v_fma_f64 v[40:41], s[2:3], v[12:13], v[28:29]
	v_fmac_f64_e32 v[28:29], s[4:5], v[12:13]
	v_add_f64 v[8:9], v[8:9], v[18:19]
	v_fma_f64 v[12:13], s[2:3], v[10:11], v[4:5]
	v_fmac_f64_e32 v[4:5], s[4:5], v[10:11]
	v_add_f64 v[10:11], v[6:7], v[68:69]
	v_fmac_f64_e32 v[6:7], -0.5, v[14:15]
	v_add_f64 v[16:17], v[16:17], -v[18:19]
	v_add_f64 v[18:19], v[74:75], v[22:23]
	v_fma_f64 v[14:15], s[4:5], v[16:17], v[6:7]
	v_fmac_f64_e32 v[6:7], s[2:3], v[16:17]
	v_add_f64 v[16:17], v[0:1], v[74:75]
	v_fmac_f64_e32 v[0:1], -0.5, v[18:19]
	v_add_f64 v[18:19], v[82:83], -v[76:77]
	;; [unrolled: 6-line block ×3, first 2 shown]
	v_add_f64 v[16:17], v[16:17], v[22:23]
	v_fma_f64 v[22:23], s[4:5], v[60:61], v[2:3]
	v_fmac_f64_e32 v[2:3], s[2:3], v[60:61]
	v_mov_b32_e32 v60, 4
	v_lshlrev_b32_sdwa v60, v60, v88 dst_sel:DWORD dst_unused:UNUSED_PAD src0_sel:DWORD src1_sel:BYTE_0
	v_add3_u32 v59, 0, v59, v60
	ds_write_b128 v59, v[32:35]
	ds_write_b128 v59, v[40:43] offset:480
	ds_write_b128 v59, v[28:31] offset:960
	v_mul_u32_u24_e32 v28, 0x5a0, v89
	v_lshlrev_b32_e32 v29, 4, v91
	v_add3_u32 v28, 0, v28, v29
	ds_write_b128 v28, v[36:39]
	ds_write_b128 v28, v[44:47] offset:480
	ds_write_b128 v28, v[24:27] offset:960
	v_mul_u32_u24_e32 v24, 0x5a0, v90
	v_lshlrev_b32_e32 v25, 4, v92
	v_add_f64 v[10:11], v[10:11], v[72:73]
	v_add_f64 v[18:19], v[18:19], v[76:77]
	v_add3_u32 v24, 0, v24, v25
	ds_write_b128 v24, v[8:11]
	ds_write_b128 v24, v[12:15] offset:480
	ds_write_b128 v24, v[4:7] offset:960
	s_and_saveexec_b64 s[2:3], vcc
	s_cbranch_execz .LBB0_27
; %bb.26:
	v_mul_lo_u16_e32 v24, 0x5a, v54
	v_lshlrev_b32_e32 v25, 4, v55
	v_lshlrev_b32_e32 v24, 4, v24
	v_add3_u32 v24, 0, v25, v24
	ds_write_b128 v24, v[16:19]
	ds_write_b128 v24, v[20:23] offset:480
	ds_write_b128 v24, v[0:3] offset:960
.LBB0_27:
	s_or_b64 exec, exec, s[2:3]
	s_waitcnt lgkmcnt(0)
	s_barrier
	ds_read_b128 v[24:27], v56
	ds_read_b128 v[44:47], v56 offset:4320
	ds_read_b128 v[40:43], v56 offset:8640
	ds_read_b128 v[36:39], v56 offset:12960
	ds_read_b128 v[32:35], v56 offset:17280
	ds_read_b128 v[28:31], v56 offset:21600
	s_movk_i32 s2, 0x6c
	v_cmp_gt_u32_e64 s[2:3], s2, v52
	s_and_saveexec_b64 s[4:5], s[2:3]
	s_cbranch_execz .LBB0_29
; %bb.28:
	ds_read_b128 v[8:11], v56 offset:2592
	ds_read_b128 v[12:15], v56 offset:6912
	;; [unrolled: 1-line block ×6, first 2 shown]
.LBB0_29:
	s_or_b64 exec, exec, s[4:5]
	s_movk_i32 s4, 0x5a
	v_add_u32_e32 v54, 0xffffffa6, v52
	v_cmp_gt_u32_e64 s[4:5], s4, v52
	v_mov_b32_e32 v55, 0
	s_mov_b32 s12, 0xe8584caa
	v_cndmask_b32_e64 v59, v54, v52, s[4:5]
	v_mul_i32_i24_e32 v54, 5, v59
	v_lshl_add_u64 v[54:55], v[54:55], 4, s[8:9]
	global_load_dwordx4 v[60:63], v[54:55], off offset:1280
	global_load_dwordx4 v[64:67], v[54:55], off offset:1296
	;; [unrolled: 1-line block ×5, first 2 shown]
	s_movk_i32 s4, 0x2d83
	v_mul_u32_u24_sdwa v54, v58, s4 dst_sel:DWORD dst_unused:UNUSED_PAD src0_sel:WORD_0 src1_sel:DWORD
	v_lshrrev_b32_e32 v54, 20, v54
	v_mul_lo_u16_e32 v55, 0x5a, v54
	v_sub_u16_e32 v55, v58, v55
	v_mul_u32_u24_e32 v80, 5, v55
	v_lshlrev_b32_e32 v94, 4, v80
	global_load_dwordx4 v[80:83], v94, s[8:9] offset:1280
	global_load_dwordx4 v[84:87], v94, s[8:9] offset:1296
	;; [unrolled: 1-line block ×3, first 2 shown]
	s_mov_b32 s13, 0x3febb67a
	s_mov_b32 s5, 0xbfebb67a
	;; [unrolled: 1-line block ×3, first 2 shown]
	v_lshlrev_b32_e32 v59, 4, v59
	s_waitcnt vmcnt(7) lgkmcnt(4)
	v_mul_f64 v[92:93], v[46:47], v[62:63]
	v_mul_f64 v[62:63], v[44:45], v[62:63]
	v_fma_f64 v[92:93], v[44:45], v[60:61], -v[92:93]
	v_fmac_f64_e32 v[62:63], v[46:47], v[60:61]
	global_load_dwordx4 v[44:47], v94, s[8:9] offset:1328
	s_waitcnt vmcnt(7) lgkmcnt(3)
	v_mul_f64 v[60:61], v[42:43], v[66:67]
	v_mul_f64 v[66:67], v[40:41], v[66:67]
	v_fma_f64 v[60:61], v[40:41], v[64:65], -v[60:61]
	v_fmac_f64_e32 v[66:67], v[42:43], v[64:65]
	global_load_dwordx4 v[40:43], v94, s[8:9] offset:1344
	s_waitcnt vmcnt(7) lgkmcnt(2)
	v_mul_f64 v[64:65], v[38:39], v[70:71]
	v_mul_f64 v[70:71], v[36:37], v[70:71]
	s_waitcnt vmcnt(6) lgkmcnt(1)
	v_mul_f64 v[94:95], v[34:35], v[74:75]
	v_fmac_f64_e32 v[70:71], v[38:39], v[68:69]
	v_mul_f64 v[38:39], v[32:33], v[74:75]
	v_fma_f64 v[32:33], v[32:33], v[72:73], -v[94:95]
	v_fma_f64 v[36:37], v[36:37], v[68:69], -v[64:65]
	s_waitcnt vmcnt(5) lgkmcnt(0)
	v_mul_f64 v[68:69], v[28:29], v[78:79]
	v_fmac_f64_e32 v[38:39], v[34:35], v[72:73]
	v_add_f64 v[34:35], v[60:61], v[32:33]
	v_mul_f64 v[64:65], v[30:31], v[78:79]
	v_fmac_f64_e32 v[68:69], v[30:31], v[76:77]
	v_add_f64 v[30:31], v[24:25], v[60:61]
	s_waitcnt vmcnt(4)
	v_mul_f64 v[94:95], v[14:15], v[82:83]
	v_fmac_f64_e32 v[24:25], -0.5, v[34:35]
	v_fma_f64 v[28:29], v[28:29], v[76:77], -v[64:65]
	v_add_f64 v[60:61], v[60:61], -v[32:33]
	v_mul_f64 v[82:83], v[12:13], v[82:83]
	v_fma_f64 v[12:13], v[12:13], v[80:81], -v[94:95]
	s_waitcnt vmcnt(2)
	v_mul_f64 v[94:95], v[18:19], v[90:91]
	v_add_f64 v[30:31], v[30:31], v[32:33]
	v_mul_f64 v[32:33], v[16:17], v[90:91]
	v_add_f64 v[76:77], v[36:37], v[28:29]
	v_fmac_f64_e32 v[82:83], v[14:15], v[80:81]
	v_add_f64 v[14:15], v[62:63], v[70:71]
	v_add_f64 v[74:75], v[92:93], v[36:37]
	v_add_f64 v[78:79], v[70:71], -v[68:69]
	v_fmac_f64_e32 v[92:93], -0.5, v[76:77]
	v_add_f64 v[64:65], v[66:67], -v[38:39]
	v_add_f64 v[72:73], v[26:27], v[66:67]
	v_add_f64 v[66:67], v[66:67], v[38:39]
	v_mul_f64 v[80:81], v[6:7], v[86:87]
	v_fmac_f64_e32 v[32:33], v[18:19], v[88:89]
	v_fma_f64 v[18:19], s[12:13], v[78:79], v[92:93]
	v_mul_f64 v[86:87], v[4:5], v[86:87]
	v_add_f64 v[72:73], v[72:73], v[38:39]
	v_fmac_f64_e32 v[26:27], -0.5, v[66:67]
	v_fma_f64 v[4:5], v[4:5], v[84:85], -v[80:81]
	v_add_f64 v[66:67], v[74:75], v[28:29]
	v_fmac_f64_e32 v[86:87], v[6:7], v[84:85]
	v_fma_f64 v[6:7], v[16:17], v[88:89], -v[94:95]
	v_fma_f64 v[16:17], s[4:5], v[60:61], v[26:27]
	v_fmac_f64_e32 v[26:27], s[12:13], v[60:61]
	v_add_f64 v[60:61], v[30:31], -v[66:67]
	v_fmac_f64_e32 v[92:93], s[4:5], v[78:79]
	v_add_f64 v[14:15], v[14:15], v[68:69]
	s_barrier
	s_waitcnt vmcnt(1)
	v_mul_f64 v[34:35], v[22:23], v[46:47]
	v_mul_f64 v[90:91], v[20:21], v[46:47]
	v_fma_f64 v[34:35], v[20:21], v[44:45], -v[34:35]
	v_add_f64 v[20:21], v[70:71], v[68:69]
	v_fmac_f64_e32 v[62:63], -0.5, v[20:21]
	v_add_f64 v[20:21], v[36:37], -v[28:29]
	v_fmac_f64_e32 v[90:91], v[22:23], v[44:45]
	v_fma_f64 v[22:23], s[4:5], v[20:21], v[62:63]
	s_waitcnt vmcnt(0)
	v_mul_f64 v[76:77], v[0:1], v[42:43]
	v_fmac_f64_e32 v[62:63], s[12:13], v[20:21]
	v_mul_f64 v[20:21], v[22:23], s[12:13]
	v_mul_f64 v[38:39], v[2:3], v[42:43]
	v_fmac_f64_e32 v[76:77], v[2:3], v[40:41]
	v_fma_f64 v[2:3], s[12:13], v[64:65], v[24:25]
	v_fmac_f64_e32 v[20:21], 0.5, v[18:19]
	v_mul_f64 v[18:19], v[18:19], s[4:5]
	v_fma_f64 v[0:1], v[0:1], v[40:41], -v[38:39]
	v_fmac_f64_e32 v[24:25], s[4:5], v[64:65]
	v_add_f64 v[40:41], v[2:3], v[20:21]
	v_fmac_f64_e32 v[18:19], 0.5, v[22:23]
	v_add_f64 v[64:65], v[2:3], -v[20:21]
	v_add_f64 v[2:3], v[8:9], v[4:5]
	v_add_f64 v[36:37], v[30:31], v[66:67]
	;; [unrolled: 1-line block ×3, first 2 shown]
	v_add_f64 v[66:67], v[16:17], -v[18:19]
	v_add_f64 v[16:17], v[2:3], v[34:35]
	v_add_f64 v[2:3], v[4:5], v[34:35]
	v_fmac_f64_e32 v[8:9], -0.5, v[2:3]
	v_add_f64 v[2:3], v[86:87], -v[90:91]
	v_fma_f64 v[18:19], s[12:13], v[2:3], v[8:9]
	v_fmac_f64_e32 v[8:9], s[4:5], v[2:3]
	v_add_f64 v[2:3], v[10:11], v[86:87]
	v_mul_f64 v[28:29], v[92:93], -0.5
	v_add_f64 v[20:21], v[2:3], v[90:91]
	v_add_f64 v[2:3], v[86:87], v[90:91]
	v_fmac_f64_e32 v[28:29], s[12:13], v[62:63]
	v_mul_f64 v[22:23], v[62:63], -0.5
	v_fmac_f64_e32 v[10:11], -0.5, v[2:3]
	v_add_f64 v[2:3], v[4:5], -v[34:35]
	v_add_f64 v[44:45], v[24:25], v[28:29]
	v_fmac_f64_e32 v[22:23], s[4:5], v[92:93]
	v_add_f64 v[68:69], v[24:25], -v[28:29]
	v_fma_f64 v[24:25], s[4:5], v[2:3], v[10:11]
	v_fmac_f64_e32 v[10:11], s[12:13], v[2:3]
	v_add_f64 v[2:3], v[12:13], v[6:7]
	v_add_f64 v[46:47], v[26:27], v[22:23]
	v_add_f64 v[70:71], v[26:27], -v[22:23]
	v_add_f64 v[22:23], v[2:3], v[0:1]
	v_add_f64 v[2:3], v[6:7], v[0:1]
	v_fmac_f64_e32 v[12:13], -0.5, v[2:3]
	v_add_f64 v[2:3], v[32:33], -v[76:77]
	v_fma_f64 v[4:5], s[12:13], v[2:3], v[12:13]
	v_fmac_f64_e32 v[12:13], s[4:5], v[2:3]
	v_add_f64 v[2:3], v[82:83], v[32:33]
	v_add_f64 v[26:27], v[2:3], v[76:77]
	;; [unrolled: 1-line block ×3, first 2 shown]
	v_fmac_f64_e32 v[82:83], -0.5, v[2:3]
	v_add_f64 v[0:1], v[6:7], -v[0:1]
	v_fma_f64 v[2:3], s[4:5], v[0:1], v[82:83]
	v_fmac_f64_e32 v[82:83], s[12:13], v[0:1]
	v_mul_f64 v[34:35], v[82:83], -0.5
	v_mul_f64 v[32:33], v[4:5], s[4:5]
	v_fmac_f64_e32 v[34:35], s[4:5], v[12:13]
	s_movk_i32 s4, 0x59
	v_add_f64 v[38:39], v[72:73], v[14:15]
	v_add_f64 v[62:63], v[72:73], -v[14:15]
	v_mul_f64 v[28:29], v[2:3], s[12:13]
	v_mul_f64 v[30:31], v[12:13], -0.5
	v_mov_b32_e32 v72, 0x21c0
	v_cmp_lt_u32_e64 s[4:5], s4, v52
	v_fmac_f64_e32 v[28:29], 0.5, v[4:5]
	v_fmac_f64_e32 v[30:31], s[12:13], v[82:83]
	v_fmac_f64_e32 v[32:33], 0.5, v[2:3]
	v_cndmask_b32_e64 v72, 0, v72, s[4:5]
	v_add_f64 v[0:1], v[16:17], -v[22:23]
	v_add_f64 v[4:5], v[18:19], -v[28:29]
	;; [unrolled: 1-line block ×6, first 2 shown]
	v_add3_u32 v59, 0, v72, v59
	ds_write_b128 v59, v[36:39]
	ds_write_b128 v59, v[40:43] offset:1440
	ds_write_b128 v59, v[44:47] offset:2880
	;; [unrolled: 1-line block ×5, first 2 shown]
	s_and_saveexec_b64 s[4:5], s[2:3]
	s_cbranch_execz .LBB0_31
; %bb.30:
	v_add_f64 v[8:9], v[8:9], v[30:31]
	v_add_f64 v[30:31], v[18:19], v[28:29]
	;; [unrolled: 1-line block ×3, first 2 shown]
	v_mul_lo_u16_e32 v16, 0x21c, v54
	v_lshlrev_b32_e32 v17, 4, v55
	v_lshlrev_b32_e32 v16, 4, v16
	v_add_f64 v[20:21], v[20:21], v[26:27]
	v_add3_u32 v16, 0, v17, v16
	v_add_f64 v[10:11], v[10:11], v[34:35]
	v_add_f64 v[32:33], v[24:25], v[32:33]
	ds_write_b128 v16, v[18:21]
	ds_write_b128 v16, v[30:33] offset:1440
	ds_write_b128 v16, v[8:11] offset:2880
	;; [unrolled: 1-line block ×5, first 2 shown]
.LBB0_31:
	s_or_b64 exec, exec, s[4:5]
	s_waitcnt lgkmcnt(0)
	s_barrier
	ds_read_b128 v[20:23], v56
	ds_read_b128 v[16:19], v56 offset:2592
	ds_read_b128 v[40:43], v56 offset:17280
	;; [unrolled: 1-line block ×8, first 2 shown]
	s_and_saveexec_b64 s[2:3], vcc
	s_cbranch_execz .LBB0_33
; %bb.32:
	ds_read_b128 v[0:3], v56 offset:7776
	ds_read_b128 v[4:7], v56 offset:16416
	ds_read_b128 v[12:15], v56 offset:25056
.LBB0_33:
	s_or_b64 exec, exec, s[2:3]
	v_lshlrev_b32_e32 v54, 1, v52
	v_mov_b32_e32 v55, 0
	v_lshl_add_u64 v[60:61], v[54:55], 4, s[8:9]
	s_movk_i32 s12, 0x2000
	v_add_co_u32_e64 v70, s[2:3], s12, v60
	v_lshlrev_b32_e32 v54, 1, v58
	s_mov_b64 s[4:5], 0x2120
	v_addc_co_u32_e64 v71, s[2:3], 0, v61, s[2:3]
	v_lshl_add_u64 v[58:59], v[54:55], 4, s[8:9]
	v_lshl_add_u64 v[76:77], v[58:59], 0, s[4:5]
	v_add_co_u32_e64 v58, s[2:3], s12, v58
	v_lshl_add_u64 v[68:69], v[60:61], 0, s[4:5]
	s_nop 0
	v_addc_co_u32_e64 v59, s[2:3], 0, v59, s[2:3]
	v_lshlrev_b32_e32 v54, 1, v57
	global_load_dwordx4 v[60:63], v[70:71], off offset:288
	global_load_dwordx4 v[64:67], v[68:69], off offset:16
	s_nop 0
	global_load_dwordx4 v[68:71], v[58:59], off offset:288
	global_load_dwordx4 v[72:75], v[76:77], off offset:16
	v_lshl_add_u64 v[58:59], v[54:55], 4, s[8:9]
	v_add_co_u32_e64 v76, s[2:3], s12, v58
	s_mov_b32 s13, 0xbfebb67a
	s_nop 0
	v_addc_co_u32_e64 v77, s[2:3], 0, v59, s[2:3]
	v_lshl_add_u64 v[58:59], v[58:59], 0, s[4:5]
	global_load_dwordx4 v[76:79], v[76:77], off offset:288
	s_mov_b32 s2, 0xe8584caa
	global_load_dwordx4 v[80:83], v[58:59], off offset:16
	s_mov_b32 s3, 0x3febb67a
	s_mov_b32 s12, s2
	s_waitcnt lgkmcnt(0)
	s_barrier
	s_waitcnt vmcnt(5)
	v_mul_f64 v[58:59], v[46:47], v[62:63]
	v_mul_f64 v[62:63], v[44:45], v[62:63]
	s_waitcnt vmcnt(4)
	v_mul_f64 v[84:85], v[42:43], v[66:67]
	v_mul_f64 v[66:67], v[40:41], v[66:67]
	v_fma_f64 v[44:45], v[44:45], v[60:61], -v[58:59]
	v_fmac_f64_e32 v[62:63], v[46:47], v[60:61]
	v_fmac_f64_e32 v[66:67], v[42:43], v[64:65]
	s_waitcnt vmcnt(3)
	v_mul_f64 v[42:43], v[38:39], v[70:71]
	v_mul_f64 v[46:47], v[36:37], v[70:71]
	s_waitcnt vmcnt(2)
	v_mul_f64 v[58:59], v[34:35], v[74:75]
	v_mul_f64 v[60:61], v[32:33], v[74:75]
	v_fma_f64 v[40:41], v[40:41], v[64:65], -v[84:85]
	v_fma_f64 v[36:37], v[36:37], v[68:69], -v[42:43]
	v_fmac_f64_e32 v[46:47], v[38:39], v[68:69]
	v_fma_f64 v[32:33], v[32:33], v[72:73], -v[58:59]
	v_fmac_f64_e32 v[60:61], v[34:35], v[72:73]
	s_waitcnt vmcnt(1)
	v_mul_f64 v[34:35], v[30:31], v[78:79]
	v_mul_f64 v[58:59], v[28:29], v[78:79]
	s_waitcnt vmcnt(0)
	v_mul_f64 v[38:39], v[26:27], v[82:83]
	v_add_f64 v[42:43], v[20:21], v[44:45]
	v_mul_f64 v[64:65], v[24:25], v[82:83]
	v_add_f64 v[70:71], v[62:63], -v[66:67]
	v_add_f64 v[72:73], v[22:23], v[62:63]
	v_add_f64 v[62:63], v[62:63], v[66:67]
	v_fma_f64 v[74:75], v[28:29], v[76:77], -v[34:35]
	v_fmac_f64_e32 v[58:59], v[30:31], v[76:77]
	v_fma_f64 v[76:77], v[24:25], v[80:81], -v[38:39]
	v_add_f64 v[24:25], v[42:43], v[40:41]
	v_add_f64 v[34:35], v[16:17], v[36:37]
	;; [unrolled: 1-line block ×5, first 2 shown]
	v_add_f64 v[44:45], v[44:45], -v[40:41]
	v_fmac_f64_e32 v[22:23], -0.5, v[62:63]
	v_add_f64 v[40:41], v[46:47], -v[60:61]
	v_add_f64 v[62:63], v[36:37], -v[32:33]
	v_add_f64 v[32:33], v[34:35], v[32:33]
	v_fmac_f64_e32 v[16:17], -0.5, v[38:39]
	v_add_f64 v[34:35], v[42:43], v[60:61]
	v_add_f64 v[42:43], v[8:9], v[74:75]
	v_fmac_f64_e32 v[64:65], v[26:27], v[80:81]
	v_add_f64 v[46:47], v[46:47], v[60:61]
	v_fma_f64 v[36:37], s[2:3], v[40:41], v[16:17]
	v_fmac_f64_e32 v[16:17], s[12:13], v[40:41]
	v_add_f64 v[40:41], v[42:43], v[76:77]
	v_add_f64 v[42:43], v[74:75], v[76:77]
	v_fmac_f64_e32 v[18:19], -0.5, v[46:47]
	v_fmac_f64_e32 v[8:9], -0.5, v[42:43]
	v_add_f64 v[42:43], v[58:59], -v[64:65]
	v_add_f64 v[46:47], v[58:59], v[64:65]
	v_fmac_f64_e32 v[20:21], -0.5, v[68:69]
	v_add_f64 v[26:27], v[72:73], v[66:67]
	v_fma_f64 v[30:31], s[12:13], v[44:45], v[22:23]
	v_fmac_f64_e32 v[22:23], s[2:3], v[44:45]
	v_fma_f64 v[44:45], s[2:3], v[42:43], v[8:9]
	v_fmac_f64_e32 v[8:9], s[12:13], v[42:43]
	v_add_f64 v[42:43], v[10:11], v[58:59]
	v_fmac_f64_e32 v[10:11], -0.5, v[46:47]
	v_add_f64 v[58:59], v[74:75], -v[76:77]
	v_fma_f64 v[28:29], s[2:3], v[70:71], v[20:21]
	v_fmac_f64_e32 v[20:21], s[12:13], v[70:71]
	v_fma_f64 v[38:39], s[12:13], v[62:63], v[18:19]
	v_fmac_f64_e32 v[18:19], s[2:3], v[62:63]
	v_add_f64 v[42:43], v[42:43], v[64:65]
	v_fma_f64 v[46:47], s[12:13], v[58:59], v[10:11]
	v_fmac_f64_e32 v[10:11], s[2:3], v[58:59]
	ds_write_b128 v56, v[24:27]
	ds_write_b128 v56, v[28:31] offset:8640
	ds_write_b128 v56, v[20:23] offset:17280
	;; [unrolled: 1-line block ×8, first 2 shown]
	s_and_saveexec_b64 s[14:15], vcc
	s_cbranch_execz .LBB0_35
; %bb.34:
	v_subrev_u32_e32 v8, 54, v52
	v_cndmask_b32_e32 v8, v8, v53, vcc
	v_lshlrev_b32_e32 v54, 1, v8
	v_lshl_add_u64 v[8:9], v[54:55], 4, s[8:9]
	v_add_co_u32_e32 v22, vcc, 0x2000, v8
	v_lshl_add_u64 v[20:21], v[8:9], 0, s[4:5]
	s_nop 0
	v_addc_co_u32_e32 v23, vcc, 0, v9, vcc
	global_load_dwordx4 v[8:11], v[22:23], off offset:288
	global_load_dwordx4 v[16:19], v[20:21], off offset:16
	s_waitcnt vmcnt(1)
	v_mul_f64 v[20:21], v[6:7], v[10:11]
	s_waitcnt vmcnt(0)
	v_mul_f64 v[22:23], v[14:15], v[18:19]
	v_mul_f64 v[10:11], v[4:5], v[10:11]
	;; [unrolled: 1-line block ×3, first 2 shown]
	v_fma_f64 v[4:5], v[4:5], v[8:9], -v[20:21]
	v_fma_f64 v[12:13], v[12:13], v[16:17], -v[22:23]
	v_fmac_f64_e32 v[10:11], v[6:7], v[8:9]
	v_fmac_f64_e32 v[18:19], v[14:15], v[16:17]
	v_add_f64 v[8:9], v[4:5], -v[12:13]
	v_add_f64 v[6:7], v[10:11], v[18:19]
	v_add_f64 v[14:15], v[2:3], v[10:11]
	v_add_f64 v[16:17], v[4:5], v[12:13]
	v_add_f64 v[4:5], v[0:1], v[4:5]
	v_add_f64 v[20:21], v[10:11], -v[18:19]
	v_fma_f64 v[2:3], -0.5, v[6:7], v[2:3]
	v_add_f64 v[6:7], v[14:15], v[18:19]
	v_fma_f64 v[0:1], -0.5, v[16:17], v[0:1]
	v_add_f64 v[4:5], v[4:5], v[12:13]
	v_fma_f64 v[10:11], s[2:3], v[8:9], v[2:3]
	v_fmac_f64_e32 v[2:3], s[12:13], v[8:9]
	v_fma_f64 v[8:9], s[12:13], v[20:21], v[0:1]
	v_fmac_f64_e32 v[0:1], s[2:3], v[20:21]
	ds_write_b128 v56, v[4:7] offset:7776
	ds_write_b128 v56, v[0:3] offset:16416
	;; [unrolled: 1-line block ×3, first 2 shown]
.LBB0_35:
	s_or_b64 exec, exec, s[14:15]
	s_waitcnt lgkmcnt(0)
	s_barrier
	s_and_saveexec_b64 s[2:3], s[0:1]
	s_cbranch_execz .LBB0_37
; %bb.36:
	v_mul_lo_u32 v0, s11, v50
	v_mul_lo_u32 v1, s10, v51
	v_mad_u64_u32 v[4:5], s[0:1], s10, v50, 0
	v_lshl_add_u32 v12, v52, 4, 0
	v_add3_u32 v5, v5, v1, v0
	ds_read_b128 v[0:3], v12
	v_lshl_add_u64 v[4:5], v[4:5], 4, s[6:7]
	v_lshl_add_u64 v[8:9], v[48:49], 4, v[4:5]
	ds_read_b128 v[4:7], v12 offset:2592
	v_mov_b32_e32 v53, 0
	v_lshl_add_u64 v[10:11], v[52:53], 4, v[8:9]
	s_waitcnt lgkmcnt(1)
	global_store_dwordx4 v[10:11], v[0:3], off
	s_nop 1
	v_add_u32_e32 v0, 0xa2, v52
	v_mov_b32_e32 v1, v53
	v_lshl_add_u64 v[0:1], v[0:1], 4, v[8:9]
	s_waitcnt lgkmcnt(0)
	global_store_dwordx4 v[0:1], v[4:7], off
	ds_read_b128 v[0:3], v12 offset:5184
	s_nop 0
	v_add_u32_e32 v4, 0x144, v52
	v_mov_b32_e32 v5, v53
	v_lshl_add_u64 v[10:11], v[4:5], 4, v[8:9]
	ds_read_b128 v[4:7], v12 offset:7776
	s_waitcnt lgkmcnt(1)
	global_store_dwordx4 v[10:11], v[0:3], off
	s_nop 1
	v_add_u32_e32 v0, 0x1e6, v52
	v_mov_b32_e32 v1, v53
	v_lshl_add_u64 v[0:1], v[0:1], 4, v[8:9]
	s_waitcnt lgkmcnt(0)
	global_store_dwordx4 v[0:1], v[4:7], off
	ds_read_b128 v[0:3], v12 offset:10368
	s_nop 0
	v_add_u32_e32 v4, 0x288, v52
	v_mov_b32_e32 v5, v53
	v_lshl_add_u64 v[10:11], v[4:5], 4, v[8:9]
	ds_read_b128 v[4:7], v12 offset:12960
	;; [unrolled: 14-line block ×3, first 2 shown]
	s_waitcnt lgkmcnt(1)
	global_store_dwordx4 v[10:11], v[0:3], off
	v_add_u32_e32 v10, 0x510, v52
	v_mov_b32_e32 v11, v53
	v_add_u32_e32 v0, 0x46e, v52
	v_mov_b32_e32 v1, v53
	v_lshl_add_u64 v[0:1], v[0:1], 4, v[8:9]
	s_waitcnt lgkmcnt(0)
	global_store_dwordx4 v[0:1], v[4:7], off
	ds_read_b128 v[0:3], v12 offset:20736
	ds_read_b128 v[4:7], v12 offset:23328
	v_lshl_add_u64 v[10:11], v[10:11], 4, v[8:9]
	v_add_u32_e32 v52, 0x5b2, v52
	s_waitcnt lgkmcnt(1)
	global_store_dwordx4 v[10:11], v[0:3], off
	s_nop 1
	v_lshl_add_u64 v[0:1], v[52:53], 4, v[8:9]
	s_waitcnt lgkmcnt(0)
	global_store_dwordx4 v[0:1], v[4:7], off
.LBB0_37:
	s_endpgm
	.section	.rodata,"a",@progbits
	.p2align	6, 0x0
	.amdhsa_kernel fft_rtc_fwd_len1620_factors_10_3_3_6_3_wgs_162_tpt_162_halfLds_dp_op_CI_CI_unitstride_sbrr_C2R_dirReg
		.amdhsa_group_segment_fixed_size 0
		.amdhsa_private_segment_fixed_size 0
		.amdhsa_kernarg_size 104
		.amdhsa_user_sgpr_count 2
		.amdhsa_user_sgpr_dispatch_ptr 0
		.amdhsa_user_sgpr_queue_ptr 0
		.amdhsa_user_sgpr_kernarg_segment_ptr 1
		.amdhsa_user_sgpr_dispatch_id 0
		.amdhsa_user_sgpr_kernarg_preload_length 0
		.amdhsa_user_sgpr_kernarg_preload_offset 0
		.amdhsa_user_sgpr_private_segment_size 0
		.amdhsa_uses_dynamic_stack 0
		.amdhsa_enable_private_segment 0
		.amdhsa_system_sgpr_workgroup_id_x 1
		.amdhsa_system_sgpr_workgroup_id_y 0
		.amdhsa_system_sgpr_workgroup_id_z 0
		.amdhsa_system_sgpr_workgroup_info 0
		.amdhsa_system_vgpr_workitem_id 0
		.amdhsa_next_free_vgpr 96
		.amdhsa_next_free_sgpr 28
		.amdhsa_accum_offset 96
		.amdhsa_reserve_vcc 1
		.amdhsa_float_round_mode_32 0
		.amdhsa_float_round_mode_16_64 0
		.amdhsa_float_denorm_mode_32 3
		.amdhsa_float_denorm_mode_16_64 3
		.amdhsa_dx10_clamp 1
		.amdhsa_ieee_mode 1
		.amdhsa_fp16_overflow 0
		.amdhsa_tg_split 0
		.amdhsa_exception_fp_ieee_invalid_op 0
		.amdhsa_exception_fp_denorm_src 0
		.amdhsa_exception_fp_ieee_div_zero 0
		.amdhsa_exception_fp_ieee_overflow 0
		.amdhsa_exception_fp_ieee_underflow 0
		.amdhsa_exception_fp_ieee_inexact 0
		.amdhsa_exception_int_div_zero 0
	.end_amdhsa_kernel
	.text
.Lfunc_end0:
	.size	fft_rtc_fwd_len1620_factors_10_3_3_6_3_wgs_162_tpt_162_halfLds_dp_op_CI_CI_unitstride_sbrr_C2R_dirReg, .Lfunc_end0-fft_rtc_fwd_len1620_factors_10_3_3_6_3_wgs_162_tpt_162_halfLds_dp_op_CI_CI_unitstride_sbrr_C2R_dirReg
                                        ; -- End function
	.section	.AMDGPU.csdata,"",@progbits
; Kernel info:
; codeLenInByte = 9332
; NumSgprs: 34
; NumVgprs: 96
; NumAgprs: 0
; TotalNumVgprs: 96
; ScratchSize: 0
; MemoryBound: 0
; FloatMode: 240
; IeeeMode: 1
; LDSByteSize: 0 bytes/workgroup (compile time only)
; SGPRBlocks: 4
; VGPRBlocks: 11
; NumSGPRsForWavesPerEU: 34
; NumVGPRsForWavesPerEU: 96
; AccumOffset: 96
; Occupancy: 5
; WaveLimiterHint : 1
; COMPUTE_PGM_RSRC2:SCRATCH_EN: 0
; COMPUTE_PGM_RSRC2:USER_SGPR: 2
; COMPUTE_PGM_RSRC2:TRAP_HANDLER: 0
; COMPUTE_PGM_RSRC2:TGID_X_EN: 1
; COMPUTE_PGM_RSRC2:TGID_Y_EN: 0
; COMPUTE_PGM_RSRC2:TGID_Z_EN: 0
; COMPUTE_PGM_RSRC2:TIDIG_COMP_CNT: 0
; COMPUTE_PGM_RSRC3_GFX90A:ACCUM_OFFSET: 23
; COMPUTE_PGM_RSRC3_GFX90A:TG_SPLIT: 0
	.text
	.p2alignl 6, 3212836864
	.fill 256, 4, 3212836864
	.type	__hip_cuid_7a44b4daa9c400e0,@object ; @__hip_cuid_7a44b4daa9c400e0
	.section	.bss,"aw",@nobits
	.globl	__hip_cuid_7a44b4daa9c400e0
__hip_cuid_7a44b4daa9c400e0:
	.byte	0                               ; 0x0
	.size	__hip_cuid_7a44b4daa9c400e0, 1

	.ident	"AMD clang version 19.0.0git (https://github.com/RadeonOpenCompute/llvm-project roc-6.4.0 25133 c7fe45cf4b819c5991fe208aaa96edf142730f1d)"
	.section	".note.GNU-stack","",@progbits
	.addrsig
	.addrsig_sym __hip_cuid_7a44b4daa9c400e0
	.amdgpu_metadata
---
amdhsa.kernels:
  - .agpr_count:     0
    .args:
      - .actual_access:  read_only
        .address_space:  global
        .offset:         0
        .size:           8
        .value_kind:     global_buffer
      - .offset:         8
        .size:           8
        .value_kind:     by_value
      - .actual_access:  read_only
        .address_space:  global
        .offset:         16
        .size:           8
        .value_kind:     global_buffer
      - .actual_access:  read_only
        .address_space:  global
        .offset:         24
        .size:           8
        .value_kind:     global_buffer
      - .actual_access:  read_only
        .address_space:  global
        .offset:         32
        .size:           8
        .value_kind:     global_buffer
      - .offset:         40
        .size:           8
        .value_kind:     by_value
      - .actual_access:  read_only
        .address_space:  global
        .offset:         48
        .size:           8
        .value_kind:     global_buffer
      - .actual_access:  read_only
        .address_space:  global
        .offset:         56
        .size:           8
        .value_kind:     global_buffer
      - .offset:         64
        .size:           4
        .value_kind:     by_value
      - .actual_access:  read_only
        .address_space:  global
        .offset:         72
        .size:           8
        .value_kind:     global_buffer
      - .actual_access:  read_only
        .address_space:  global
        .offset:         80
        .size:           8
        .value_kind:     global_buffer
      - .actual_access:  read_only
        .address_space:  global
        .offset:         88
        .size:           8
        .value_kind:     global_buffer
      - .actual_access:  write_only
        .address_space:  global
        .offset:         96
        .size:           8
        .value_kind:     global_buffer
    .group_segment_fixed_size: 0
    .kernarg_segment_align: 8
    .kernarg_segment_size: 104
    .language:       OpenCL C
    .language_version:
      - 2
      - 0
    .max_flat_workgroup_size: 162
    .name:           fft_rtc_fwd_len1620_factors_10_3_3_6_3_wgs_162_tpt_162_halfLds_dp_op_CI_CI_unitstride_sbrr_C2R_dirReg
    .private_segment_fixed_size: 0
    .sgpr_count:     34
    .sgpr_spill_count: 0
    .symbol:         fft_rtc_fwd_len1620_factors_10_3_3_6_3_wgs_162_tpt_162_halfLds_dp_op_CI_CI_unitstride_sbrr_C2R_dirReg.kd
    .uniform_work_group_size: 1
    .uses_dynamic_stack: false
    .vgpr_count:     96
    .vgpr_spill_count: 0
    .wavefront_size: 64
amdhsa.target:   amdgcn-amd-amdhsa--gfx950
amdhsa.version:
  - 1
  - 2
...

	.end_amdgpu_metadata
